;; amdgpu-corpus repo=ROCm/rocFFT kind=compiled arch=gfx1030 opt=O3
	.text
	.amdgcn_target "amdgcn-amd-amdhsa--gfx1030"
	.amdhsa_code_object_version 6
	.protected	fft_rtc_back_len2187_factors_3_3_3_3_3_3_3_wgs_243_tpt_243_halfLds_sp_op_CI_CI_sbrr_dirReg ; -- Begin function fft_rtc_back_len2187_factors_3_3_3_3_3_3_3_wgs_243_tpt_243_halfLds_sp_op_CI_CI_sbrr_dirReg
	.globl	fft_rtc_back_len2187_factors_3_3_3_3_3_3_3_wgs_243_tpt_243_halfLds_sp_op_CI_CI_sbrr_dirReg
	.p2align	8
	.type	fft_rtc_back_len2187_factors_3_3_3_3_3_3_3_wgs_243_tpt_243_halfLds_sp_op_CI_CI_sbrr_dirReg,@function
fft_rtc_back_len2187_factors_3_3_3_3_3_3_3_wgs_243_tpt_243_halfLds_sp_op_CI_CI_sbrr_dirReg: ; @fft_rtc_back_len2187_factors_3_3_3_3_3_3_3_wgs_243_tpt_243_halfLds_sp_op_CI_CI_sbrr_dirReg
; %bb.0:
	s_clause 0x2
	s_load_dwordx4 s[16:19], s[4:5], 0x18
	s_load_dwordx4 s[12:15], s[4:5], 0x0
	;; [unrolled: 1-line block ×3, first 2 shown]
	v_mul_u32_u24_e32 v1, 0x10e, v0
	v_mov_b32_e32 v7, 0
	v_mov_b32_e32 v5, 0
	;; [unrolled: 1-line block ×3, first 2 shown]
	s_waitcnt lgkmcnt(0)
	s_load_dwordx2 s[20:21], s[16:17], 0x0
	s_load_dwordx2 s[2:3], s[18:19], 0x0
	v_cmp_lt_u64_e64 s0, s[14:15], 2
	v_add_nc_u32_sdwa v9, s6, v1 dst_sel:DWORD dst_unused:UNUSED_PAD src0_sel:DWORD src1_sel:WORD_1
	v_mov_b32_e32 v10, v7
	s_and_b32 vcc_lo, exec_lo, s0
	s_cbranch_vccnz .LBB0_8
; %bb.1:
	s_load_dwordx2 s[0:1], s[4:5], 0x10
	v_mov_b32_e32 v5, 0
	v_mov_b32_e32 v6, 0
	s_add_u32 s6, s18, 8
	s_addc_u32 s7, s19, 0
	v_mov_b32_e32 v1, v5
	s_add_u32 s22, s16, 8
	v_mov_b32_e32 v2, v6
	s_addc_u32 s23, s17, 0
	s_mov_b64 s[26:27], 1
	s_waitcnt lgkmcnt(0)
	s_add_u32 s24, s0, 8
	s_addc_u32 s25, s1, 0
.LBB0_2:                                ; =>This Inner Loop Header: Depth=1
	s_load_dwordx2 s[28:29], s[24:25], 0x0
                                        ; implicit-def: $vgpr3_vgpr4
	s_mov_b32 s0, exec_lo
	s_waitcnt lgkmcnt(0)
	v_or_b32_e32 v8, s29, v10
	v_cmpx_ne_u64_e32 0, v[7:8]
	s_xor_b32 s1, exec_lo, s0
	s_cbranch_execz .LBB0_4
; %bb.3:                                ;   in Loop: Header=BB0_2 Depth=1
	v_cvt_f32_u32_e32 v3, s28
	v_cvt_f32_u32_e32 v4, s29
	s_sub_u32 s0, 0, s28
	s_subb_u32 s30, 0, s29
	v_fmac_f32_e32 v3, 0x4f800000, v4
	v_rcp_f32_e32 v3, v3
	v_mul_f32_e32 v3, 0x5f7ffffc, v3
	v_mul_f32_e32 v4, 0x2f800000, v3
	v_trunc_f32_e32 v4, v4
	v_fmac_f32_e32 v3, 0xcf800000, v4
	v_cvt_u32_f32_e32 v4, v4
	v_cvt_u32_f32_e32 v3, v3
	v_mul_lo_u32 v8, s0, v4
	v_mul_hi_u32 v11, s0, v3
	v_mul_lo_u32 v12, s30, v3
	v_add_nc_u32_e32 v8, v11, v8
	v_mul_lo_u32 v11, s0, v3
	v_add_nc_u32_e32 v8, v8, v12
	v_mul_hi_u32 v12, v3, v11
	v_mul_lo_u32 v13, v3, v8
	v_mul_hi_u32 v14, v3, v8
	v_mul_hi_u32 v15, v4, v11
	v_mul_lo_u32 v11, v4, v11
	v_mul_hi_u32 v16, v4, v8
	v_mul_lo_u32 v8, v4, v8
	v_add_co_u32 v12, vcc_lo, v12, v13
	v_add_co_ci_u32_e32 v13, vcc_lo, 0, v14, vcc_lo
	v_add_co_u32 v11, vcc_lo, v12, v11
	v_add_co_ci_u32_e32 v11, vcc_lo, v13, v15, vcc_lo
	v_add_co_ci_u32_e32 v12, vcc_lo, 0, v16, vcc_lo
	v_add_co_u32 v8, vcc_lo, v11, v8
	v_add_co_ci_u32_e32 v11, vcc_lo, 0, v12, vcc_lo
	v_add_co_u32 v3, vcc_lo, v3, v8
	v_add_co_ci_u32_e32 v4, vcc_lo, v4, v11, vcc_lo
	v_mul_hi_u32 v8, s0, v3
	v_mul_lo_u32 v12, s30, v3
	v_mul_lo_u32 v11, s0, v4
	v_add_nc_u32_e32 v8, v8, v11
	v_mul_lo_u32 v11, s0, v3
	v_add_nc_u32_e32 v8, v8, v12
	v_mul_hi_u32 v12, v3, v11
	v_mul_lo_u32 v13, v3, v8
	v_mul_hi_u32 v14, v3, v8
	v_mul_hi_u32 v15, v4, v11
	v_mul_lo_u32 v11, v4, v11
	v_mul_hi_u32 v16, v4, v8
	v_mul_lo_u32 v8, v4, v8
	v_add_co_u32 v12, vcc_lo, v12, v13
	v_add_co_ci_u32_e32 v13, vcc_lo, 0, v14, vcc_lo
	v_add_co_u32 v11, vcc_lo, v12, v11
	v_add_co_ci_u32_e32 v11, vcc_lo, v13, v15, vcc_lo
	v_add_co_ci_u32_e32 v12, vcc_lo, 0, v16, vcc_lo
	v_add_co_u32 v8, vcc_lo, v11, v8
	v_add_co_ci_u32_e32 v11, vcc_lo, 0, v12, vcc_lo
	v_add_co_u32 v8, vcc_lo, v3, v8
	v_add_co_ci_u32_e32 v13, vcc_lo, v4, v11, vcc_lo
	v_mul_hi_u32 v15, v9, v8
	v_mad_u64_u32 v[11:12], null, v10, v8, 0
	v_mad_u64_u32 v[3:4], null, v9, v13, 0
	v_mad_u64_u32 v[13:14], null, v10, v13, 0
	v_add_co_u32 v3, vcc_lo, v15, v3
	v_add_co_ci_u32_e32 v4, vcc_lo, 0, v4, vcc_lo
	v_add_co_u32 v3, vcc_lo, v3, v11
	v_add_co_ci_u32_e32 v3, vcc_lo, v4, v12, vcc_lo
	v_add_co_ci_u32_e32 v4, vcc_lo, 0, v14, vcc_lo
	v_add_co_u32 v8, vcc_lo, v3, v13
	v_add_co_ci_u32_e32 v11, vcc_lo, 0, v4, vcc_lo
	v_mul_lo_u32 v12, s29, v8
	v_mad_u64_u32 v[3:4], null, s28, v8, 0
	v_mul_lo_u32 v13, s28, v11
	v_sub_co_u32 v3, vcc_lo, v9, v3
	v_add3_u32 v4, v4, v13, v12
	v_sub_nc_u32_e32 v12, v10, v4
	v_subrev_co_ci_u32_e64 v12, s0, s29, v12, vcc_lo
	v_add_co_u32 v13, s0, v8, 2
	v_add_co_ci_u32_e64 v14, s0, 0, v11, s0
	v_sub_co_u32 v15, s0, v3, s28
	v_sub_co_ci_u32_e32 v4, vcc_lo, v10, v4, vcc_lo
	v_subrev_co_ci_u32_e64 v12, s0, 0, v12, s0
	v_cmp_le_u32_e32 vcc_lo, s28, v15
	v_cmp_eq_u32_e64 s0, s29, v4
	v_cndmask_b32_e64 v15, 0, -1, vcc_lo
	v_cmp_le_u32_e32 vcc_lo, s29, v12
	v_cndmask_b32_e64 v16, 0, -1, vcc_lo
	v_cmp_le_u32_e32 vcc_lo, s28, v3
	;; [unrolled: 2-line block ×3, first 2 shown]
	v_cndmask_b32_e64 v17, 0, -1, vcc_lo
	v_cmp_eq_u32_e32 vcc_lo, s29, v12
	v_cndmask_b32_e64 v3, v17, v3, s0
	v_cndmask_b32_e32 v12, v16, v15, vcc_lo
	v_add_co_u32 v15, vcc_lo, v8, 1
	v_add_co_ci_u32_e32 v16, vcc_lo, 0, v11, vcc_lo
	v_cmp_ne_u32_e32 vcc_lo, 0, v12
	v_cndmask_b32_e32 v4, v16, v14, vcc_lo
	v_cndmask_b32_e32 v12, v15, v13, vcc_lo
	v_cmp_ne_u32_e32 vcc_lo, 0, v3
	v_cndmask_b32_e32 v4, v11, v4, vcc_lo
	v_cndmask_b32_e32 v3, v8, v12, vcc_lo
.LBB0_4:                                ;   in Loop: Header=BB0_2 Depth=1
	s_andn2_saveexec_b32 s0, s1
	s_cbranch_execz .LBB0_6
; %bb.5:                                ;   in Loop: Header=BB0_2 Depth=1
	v_cvt_f32_u32_e32 v3, s28
	s_sub_i32 s1, 0, s28
	v_rcp_iflag_f32_e32 v3, v3
	v_mul_f32_e32 v3, 0x4f7ffffe, v3
	v_cvt_u32_f32_e32 v3, v3
	v_mul_lo_u32 v4, s1, v3
	v_mul_hi_u32 v4, v3, v4
	v_add_nc_u32_e32 v3, v3, v4
	v_mul_hi_u32 v3, v9, v3
	v_mul_lo_u32 v4, v3, s28
	v_add_nc_u32_e32 v8, 1, v3
	v_sub_nc_u32_e32 v4, v9, v4
	v_subrev_nc_u32_e32 v11, s28, v4
	v_cmp_le_u32_e32 vcc_lo, s28, v4
	v_cndmask_b32_e32 v4, v4, v11, vcc_lo
	v_cndmask_b32_e32 v3, v3, v8, vcc_lo
	v_cmp_le_u32_e32 vcc_lo, s28, v4
	v_add_nc_u32_e32 v8, 1, v3
	v_mov_b32_e32 v4, v7
	v_cndmask_b32_e32 v3, v3, v8, vcc_lo
.LBB0_6:                                ;   in Loop: Header=BB0_2 Depth=1
	s_or_b32 exec_lo, exec_lo, s0
	v_mul_lo_u32 v8, v4, s28
	v_mul_lo_u32 v13, v3, s29
	s_load_dwordx2 s[0:1], s[22:23], 0x0
	v_mad_u64_u32 v[11:12], null, v3, s28, 0
	s_load_dwordx2 s[28:29], s[6:7], 0x0
	s_add_u32 s26, s26, 1
	s_addc_u32 s27, s27, 0
	s_add_u32 s6, s6, 8
	s_addc_u32 s7, s7, 0
	s_add_u32 s22, s22, 8
	v_add3_u32 v8, v12, v13, v8
	v_sub_co_u32 v9, vcc_lo, v9, v11
	s_addc_u32 s23, s23, 0
	s_add_u32 s24, s24, 8
	v_sub_co_ci_u32_e32 v8, vcc_lo, v10, v8, vcc_lo
	s_addc_u32 s25, s25, 0
	s_waitcnt lgkmcnt(0)
	v_mul_lo_u32 v10, s0, v8
	v_mul_lo_u32 v11, s1, v9
	v_mad_u64_u32 v[5:6], null, s0, v9, v[5:6]
	v_mul_lo_u32 v8, s28, v8
	v_mul_lo_u32 v12, s29, v9
	v_mad_u64_u32 v[1:2], null, s28, v9, v[1:2]
	v_cmp_ge_u64_e64 s0, s[26:27], s[14:15]
	v_add3_u32 v6, v11, v6, v10
	v_add3_u32 v2, v12, v2, v8
	s_and_b32 vcc_lo, exec_lo, s0
	s_cbranch_vccnz .LBB0_9
; %bb.7:                                ;   in Loop: Header=BB0_2 Depth=1
	v_mov_b32_e32 v10, v4
	v_mov_b32_e32 v9, v3
	s_branch .LBB0_2
.LBB0_8:
	v_mov_b32_e32 v1, v5
	v_mov_b32_e32 v3, v9
	;; [unrolled: 1-line block ×4, first 2 shown]
.LBB0_9:
	s_load_dwordx2 s[0:1], s[4:5], 0x28
	v_mul_hi_u32 v8, 0x10db20b, v0
	s_lshl_b64 s[6:7], s[14:15], 3
                                        ; implicit-def: $vgpr24
                                        ; implicit-def: $vgpr25
                                        ; implicit-def: $vgpr26
	s_add_u32 s4, s18, s6
	s_addc_u32 s5, s19, s7
	s_waitcnt lgkmcnt(0)
	v_cmp_gt_u64_e32 vcc_lo, s[0:1], v[3:4]
	v_cmp_le_u64_e64 s0, s[0:1], v[3:4]
	s_and_saveexec_b32 s1, s0
	s_xor_b32 s0, exec_lo, s1
; %bb.10:
	v_mul_u32_u24_e32 v5, 0xf3, v8
                                        ; implicit-def: $vgpr8
	v_sub_nc_u32_e32 v24, v0, v5
                                        ; implicit-def: $vgpr0
                                        ; implicit-def: $vgpr5_vgpr6
	v_add_nc_u32_e32 v25, 0xf3, v24
	v_add_nc_u32_e32 v26, 0x1e6, v24
; %bb.11:
	s_or_saveexec_b32 s1, s0
                                        ; implicit-def: $vgpr13
                                        ; implicit-def: $vgpr15
                                        ; implicit-def: $vgpr11
                                        ; implicit-def: $vgpr17
                                        ; implicit-def: $vgpr19
                                        ; implicit-def: $vgpr7
                                        ; implicit-def: $vgpr21
                                        ; implicit-def: $vgpr23
                                        ; implicit-def: $vgpr9
	s_xor_b32 exec_lo, exec_lo, s1
	s_cbranch_execz .LBB0_13
; %bb.12:
	s_add_u32 s6, s16, s6
	s_addc_u32 s7, s17, s7
	v_mul_u32_u24_e32 v7, 0xf3, v8
	s_load_dwordx2 s[6:7], s[6:7], 0x0
	v_lshlrev_b64 v[5:6], 3, v[5:6]
	v_sub_nc_u32_e32 v24, v0, v7
	v_mad_u64_u32 v[7:8], null, s20, v24, 0
	v_add_nc_u32_e32 v19, 0x2d9, v24
	v_add_nc_u32_e32 v20, 0x5b2, v24
	v_add_nc_u32_e32 v25, 0xf3, v24
	v_add_nc_u32_e32 v22, 0x3cc, v24
	v_add_nc_u32_e32 v26, 0x1e6, v24
	v_mad_u64_u32 v[9:10], null, s20, v19, 0
	v_mov_b32_e32 v0, v8
	v_mad_u64_u32 v[11:12], null, s20, v20, 0
	s_waitcnt lgkmcnt(0)
	v_mul_lo_u32 v8, s7, v3
	v_mul_lo_u32 v21, s6, v4
	v_mad_u64_u32 v[15:16], null, s6, v3, 0
	v_mad_u64_u32 v[13:14], null, s20, v25, 0
	;; [unrolled: 1-line block ×3, first 2 shown]
	v_mov_b32_e32 v0, v10
	v_mov_b32_e32 v10, v12
	v_add3_u32 v16, v16, v21, v8
	v_mad_u64_u32 v[27:28], null, s20, v26, 0
	v_mov_b32_e32 v12, v14
	v_mad_u64_u32 v[18:19], null, s21, v19, v[0:1]
	v_lshlrev_b64 v[14:15], 3, v[15:16]
	v_mad_u64_u32 v[19:20], null, s21, v20, v[10:11]
	v_mov_b32_e32 v8, v17
	v_mad_u64_u32 v[16:17], null, s21, v25, v[12:13]
	v_add_co_u32 v0, s0, s8, v14
	v_mov_b32_e32 v10, v18
	v_add_co_ci_u32_e64 v14, s0, s9, v15, s0
	v_lshlrev_b64 v[7:8], 3, v[7:8]
	v_mov_b32_e32 v12, v19
	v_add_co_u32 v33, s0, v0, v5
	v_add_co_ci_u32_e64 v34, s0, v14, v6, s0
	v_lshlrev_b64 v[5:6], 3, v[9:10]
	v_mad_u64_u32 v[17:18], null, s20, v22, 0
	v_add_co_u32 v7, s0, v33, v7
	v_lshlrev_b64 v[9:10], 3, v[11:12]
	v_add_co_ci_u32_e64 v8, s0, v34, v8, s0
	v_add_nc_u32_e32 v19, 0x6a5, v24
	v_add_co_u32 v5, s0, v33, v5
	v_mov_b32_e32 v14, v16
	v_add_co_ci_u32_e64 v6, s0, v34, v6, s0
	v_add_co_u32 v15, s0, v33, v9
	v_mov_b32_e32 v0, v18
	v_mad_u64_u32 v[11:12], null, s20, v19, 0
	v_add_co_ci_u32_e64 v16, s0, v34, v10, s0
	v_lshlrev_b64 v[9:10], 3, v[13:14]
	v_mad_u64_u32 v[13:14], null, s21, v22, v[0:1]
	v_add_nc_u32_e32 v35, 0x798, v24
	v_mov_b32_e32 v0, v12
	v_add_co_u32 v29, s0, v33, v9
	v_add_co_ci_u32_e64 v30, s0, v34, v10, s0
	v_add_nc_u32_e32 v10, 0x4bf, v24
	v_mov_b32_e32 v18, v13
	v_mad_u64_u32 v[12:13], null, s21, v19, v[0:1]
	v_mov_b32_e32 v0, v28
	v_mad_u64_u32 v[13:14], null, s20, v10, 0
	v_mad_u64_u32 v[31:32], null, s20, v35, 0
	;; [unrolled: 1-line block ×3, first 2 shown]
	s_clause 0x3
	global_load_dwordx2 v[8:9], v[7:8], off
	global_load_dwordx2 v[22:23], v[5:6], off
	;; [unrolled: 1-line block ×4, first 2 shown]
	v_mov_b32_e32 v0, v14
	v_lshlrev_b64 v[14:15], 3, v[17:18]
	v_mov_b32_e32 v28, v19
	v_mad_u64_u32 v[16:17], null, s21, v10, v[0:1]
	v_mov_b32_e32 v0, v32
	v_lshlrev_b64 v[10:11], 3, v[11:12]
	v_add_co_u32 v17, s0, v33, v14
	v_lshlrev_b64 v[27:28], 3, v[27:28]
	v_mad_u64_u32 v[29:30], null, s21, v35, v[0:1]
	v_mov_b32_e32 v14, v16
	v_add_co_ci_u32_e64 v18, s0, v34, v15, s0
	v_add_co_u32 v10, s0, v33, v10
	v_add_co_ci_u32_e64 v11, s0, v34, v11, s0
	v_mov_b32_e32 v32, v29
	v_lshlrev_b64 v[12:13], 3, v[13:14]
	v_add_co_u32 v14, s0, v33, v27
	v_add_co_ci_u32_e64 v15, s0, v34, v28, s0
	v_lshlrev_b64 v[27:28], 3, v[31:32]
	v_add_co_u32 v12, s0, v33, v12
	v_add_co_ci_u32_e64 v13, s0, v34, v13, s0
	v_add_co_u32 v27, s0, v33, v27
	v_add_co_ci_u32_e64 v28, s0, v34, v28, s0
	s_clause 0x4
	global_load_dwordx2 v[18:19], v[17:18], off
	global_load_dwordx2 v[16:17], v[10:11], off
	;; [unrolled: 1-line block ×5, first 2 shown]
.LBB0_13:
	s_or_b32 exec_lo, exec_lo, s1
	s_waitcnt vmcnt(6)
	v_add_f32_e32 v0, v20, v22
	v_add_f32_e32 v5, v22, v8
	v_sub_f32_e32 v27, v23, v21
	v_add_f32_e32 v28, v21, v23
	v_sub_f32_e32 v22, v22, v20
	v_fmac_f32_e32 v8, -0.5, v0
	v_add_f32_e32 v0, v23, v9
	v_add_f32_e32 v5, v20, v5
	v_fmac_f32_e32 v9, -0.5, v28
	v_mad_u32_u24 v32, v24, 12, 0
	v_fmamk_f32 v20, v27, 0xbf5db3d7, v8
	v_fmac_f32_e32 v8, 0x3f5db3d7, v27
	v_add_f32_e32 v27, v21, v0
	s_waitcnt vmcnt(3)
	v_add_f32_e32 v0, v16, v18
	v_fmamk_f32 v28, v22, 0x3f5db3d7, v9
	v_add_f32_e32 v21, v18, v6
	v_fmac_f32_e32 v9, 0xbf5db3d7, v22
	v_add_f32_e32 v22, v17, v19
	v_fmac_f32_e32 v6, -0.5, v0
	v_sub_f32_e32 v0, v19, v17
	v_add_f32_e32 v19, v19, v7
	v_add_f32_e32 v21, v16, v21
	v_fmac_f32_e32 v7, -0.5, v22
	v_sub_f32_e32 v16, v18, v16
	v_fmamk_f32 v22, v0, 0xbf5db3d7, v6
	v_fmac_f32_e32 v6, 0x3f5db3d7, v0
	s_waitcnt vmcnt(0)
	v_add_f32_e32 v0, v12, v14
	v_add_f32_e32 v29, v17, v19
	;; [unrolled: 1-line block ×3, first 2 shown]
	v_mad_i32_i24 v18, v25, 12, 0
	v_fmamk_f32 v30, v16, 0x3f5db3d7, v7
	v_fmac_f32_e32 v10, -0.5, v0
	v_sub_f32_e32 v0, v15, v13
	v_add_f32_e32 v17, v12, v17
	v_sub_f32_e32 v12, v14, v12
	v_fmac_f32_e32 v7, 0xbf5db3d7, v16
	v_add_f32_e32 v16, v13, v15
	v_fmamk_f32 v14, v0, 0xbf5db3d7, v10
	v_fmac_f32_e32 v10, 0x3f5db3d7, v0
	v_lshlrev_b32_e32 v0, 3, v24
	v_add_f32_e32 v15, v15, v11
	v_mad_i32_i24 v19, v26, 12, 0
	ds_write2_b32 v32, v5, v20 offset1:1
	v_lshlrev_b32_e32 v20, 3, v25
	v_sub_nc_u32_e32 v0, v32, v0
	s_load_dwordx2 s[4:5], s[4:5], 0x0
	ds_write_b32 v32, v8 offset:8
	ds_write2_b32 v18, v21, v22 offset1:1
	ds_write_b32 v18, v6 offset:8
	ds_write2_b32 v19, v17, v14 offset1:1
	v_lshlrev_b32_e32 v21, 3, v26
	v_fmac_f32_e32 v11, -0.5, v16
	v_add_f32_e32 v31, v13, v15
	v_add_nc_u32_e32 v15, 0xb40, v0
	v_and_b32_e32 v8, 0xff, v24
	v_add_nc_u32_e32 v17, 0x12e0, v0
	v_add_nc_u32_e32 v16, 0x1a80, v0
	v_mov_b32_e32 v6, 0xaaab
	v_sub_nc_u32_e32 v22, v18, v20
	v_sub_nc_u32_e32 v23, v19, v21
	ds_write_b32 v19, v10 offset:8
	s_waitcnt lgkmcnt(0)
	s_barrier
	buffer_gl0_inv
	ds_read2_b32 v[13:14], v15 offset0:9 offset1:252
	v_mul_lo_u16 v5, 0xab, v8
	ds_read2_b32 v[35:36], v17 offset0:7 offset1:250
	ds_read2_b32 v[37:38], v16 offset0:5 offset1:248
	ds_read_b32 v46, v0
	ds_read_b32 v47, v22
	;; [unrolled: 1-line block ×3, first 2 shown]
	s_waitcnt lgkmcnt(0)
	s_barrier
	buffer_gl0_inv
	ds_write2_b32 v32, v27, v28 offset1:1
	ds_write_b32 v32, v9 offset:8
	ds_write2_b32 v18, v29, v30 offset1:1
	v_mul_u32_u24_sdwa v27, v25, v6 dst_sel:DWORD dst_unused:UNUSED_PAD src0_sel:WORD_0 src1_sel:DWORD
	v_mul_u32_u24_sdwa v6, v26, v6 dst_sel:DWORD dst_unused:UNUSED_PAD src0_sel:WORD_0 src1_sel:DWORD
	v_lshrrev_b16 v45, 9, v5
	v_fmamk_f32 v33, v12, 0x3f5db3d7, v11
	v_fmac_f32_e32 v11, 0xbf5db3d7, v12
	ds_write_b32 v18, v7 offset:8
	ds_write2_b32 v19, v31, v33 offset1:1
	ds_write_b32 v19, v11 offset:8
	v_lshrrev_b32_e32 v50, 17, v6
	v_mul_lo_u16 v5, v45, 3
	s_waitcnt lgkmcnt(0)
	s_barrier
	buffer_gl0_inv
	v_mul_lo_u16 v6, v50, 3
	v_sub_nc_u16 v49, v24, v5
	v_mov_b32_e32 v5, 4
	v_mul_lo_u16 v43, v8, 57
	v_mov_b32_e32 v54, 36
	v_sub_nc_u16 v52, v26, v6
	v_lshlrev_b32_sdwa v7, v5, v49 dst_sel:DWORD dst_unused:UNUSED_PAD src0_sel:DWORD src1_sel:BYTE_0
	v_lshrrev_b16 v55, 9, v43
	v_mul_u32_u24_sdwa v45, v45, v54 dst_sel:DWORD dst_unused:UNUSED_PAD src0_sel:WORD_0 src1_sel:DWORD
	v_lshlrev_b32_sdwa v6, v5, v52 dst_sel:DWORD dst_unused:UNUSED_PAD src0_sel:DWORD src1_sel:WORD_0
	global_load_dwordx4 v[9:12], v7, s[12:13]
	v_mul_lo_u16 v61, v55, 9
	global_load_dwordx4 v[31:34], v6, s[12:13]
	v_lshrrev_b32_e32 v7, 17, v27
	v_mov_b32_e32 v6, 0xe38f
	v_mul_lo_u16 v27, v7, 3
	v_mul_u32_u24_sdwa v44, v25, v6 dst_sel:DWORD dst_unused:UNUSED_PAD src0_sel:WORD_0 src1_sel:DWORD
	v_mul_u32_u24_sdwa v53, v26, v6 dst_sel:DWORD dst_unused:UNUSED_PAD src0_sel:WORD_0 src1_sel:DWORD
	v_mov_b32_e32 v6, 2
	v_mul_u32_u24_e32 v7, 36, v7
	v_sub_nc_u16 v51, v25, v27
	v_lshrrev_b32_e32 v56, 19, v44
	v_lshrrev_b32_e32 v53, 19, v53
	v_lshlrev_b32_sdwa v27, v5, v51 dst_sel:DWORD dst_unused:UNUSED_PAD src0_sel:DWORD src1_sel:WORD_0
	global_load_dwordx4 v[27:30], v27, s[12:13]
	ds_read2_b32 v[39:40], v15 offset0:9 offset1:252
	ds_read2_b32 v[41:42], v17 offset0:7 offset1:250
	;; [unrolled: 1-line block ×3, first 2 shown]
	ds_read_b32 v57, v0
	ds_read_b32 v58, v22
	;; [unrolled: 1-line block ×3, first 2 shown]
	s_waitcnt vmcnt(0) lgkmcnt(0)
	s_barrier
	buffer_gl0_inv
	v_mul_f32_e32 v54, v39, v10
	v_mul_f32_e32 v10, v13, v10
	;; [unrolled: 1-line block ×4, first 2 shown]
	v_fmac_f32_e32 v54, v13, v9
	v_lshlrev_b32_sdwa v13, v6, v51 dst_sel:DWORD dst_unused:UNUSED_PAD src0_sel:DWORD src1_sel:WORD_0
	v_fma_f32 v9, v39, v9, -v10
	v_fmac_f32_e32 v60, v36, v11
	v_fma_f32 v10, v42, v11, -v12
	v_mul_u32_u24_e32 v12, 36, v50
	v_lshlrev_b32_sdwa v36, v6, v52 dst_sel:DWORD dst_unused:UNUSED_PAD src0_sel:DWORD src1_sel:WORD_0
	v_add3_u32 v7, 0, v7, v13
	v_mul_lo_u16 v11, v56, 9
	v_sub_nc_u16 v42, v24, v61
	v_mul_lo_u16 v39, v53, 9
	v_add3_u32 v12, 0, v12, v36
	v_sub_nc_u16 v50, v25, v11
	v_lshlrev_b32_sdwa v11, v6, v49 dst_sel:DWORD dst_unused:UNUSED_PAD src0_sel:DWORD src1_sel:BYTE_0
	v_lshlrev_b32_sdwa v49, v5, v42 dst_sel:DWORD dst_unused:UNUSED_PAD src0_sel:DWORD src1_sel:BYTE_0
	v_mul_f32_e32 v13, v40, v28
	v_mul_f32_e32 v28, v14, v28
	;; [unrolled: 1-line block ×4, first 2 shown]
	v_add3_u32 v11, 0, v45, v11
	v_fmac_f32_e32 v13, v14, v27
	v_mul_f32_e32 v14, v41, v32
	v_mul_f32_e32 v32, v35, v32
	v_fma_f32 v27, v40, v27, -v28
	v_mul_f32_e32 v28, v44, v34
	v_mul_f32_e32 v34, v38, v34
	v_fmac_f32_e32 v36, v37, v29
	v_fma_f32 v29, v43, v29, -v30
	v_fmac_f32_e32 v14, v35, v31
	v_fma_f32 v30, v41, v31, -v32
	;; [unrolled: 2-line block ×3, first 2 shown]
	v_add_f32_e32 v33, v54, v60
	v_sub_f32_e32 v34, v9, v10
	v_add_f32_e32 v35, v57, v9
	v_add_f32_e32 v9, v9, v10
	v_add_f32_e32 v40, v13, v36
	v_sub_f32_e32 v41, v27, v29
	v_add_f32_e32 v43, v58, v27
	v_add_f32_e32 v27, v27, v29
	;; [unrolled: 4-line block ×3, first 2 shown]
	v_add_f32_e32 v32, v46, v54
	v_sub_f32_e32 v37, v54, v60
	v_add_f32_e32 v44, v48, v14
	v_fmac_f32_e32 v46, -0.5, v33
	v_fmac_f32_e32 v57, -0.5, v9
	v_add_f32_e32 v38, v47, v13
	v_sub_f32_e32 v13, v13, v36
	v_fmac_f32_e32 v47, -0.5, v40
	v_fmac_f32_e32 v58, -0.5, v27
	v_sub_f32_e32 v14, v14, v28
	v_fmac_f32_e32 v48, -0.5, v45
	v_fmac_f32_e32 v59, -0.5, v30
	v_add_f32_e32 v32, v32, v60
	v_add_f32_e32 v10, v35, v10
	;; [unrolled: 1-line block ×4, first 2 shown]
	v_fmamk_f32 v30, v34, 0xbf5db3d7, v46
	v_fmamk_f32 v31, v37, 0x3f5db3d7, v57
	v_fmac_f32_e32 v46, 0x3f5db3d7, v34
	v_fmac_f32_e32 v57, 0xbf5db3d7, v37
	v_add_f32_e32 v9, v38, v36
	v_add_f32_e32 v29, v43, v29
	v_fmamk_f32 v33, v41, 0xbf5db3d7, v47
	v_fmamk_f32 v34, v13, 0x3f5db3d7, v58
	v_fmac_f32_e32 v47, 0x3f5db3d7, v41
	v_fmac_f32_e32 v58, 0xbf5db3d7, v13
	v_fmamk_f32 v13, v51, 0xbf5db3d7, v48
	v_fmamk_f32 v40, v14, 0x3f5db3d7, v59
	v_fmac_f32_e32 v48, 0x3f5db3d7, v51
	v_fmac_f32_e32 v59, 0xbf5db3d7, v14
	ds_write2_b32 v11, v32, v30 offset1:3
	ds_write_b32 v11, v46 offset:24
	ds_write2_b32 v7, v9, v33 offset1:3
	ds_write_b32 v7, v47 offset:24
	;; [unrolled: 2-line block ×3, first 2 shown]
	s_waitcnt lgkmcnt(0)
	s_barrier
	buffer_gl0_inv
	ds_read2_b32 v[13:14], v15 offset0:9 offset1:252
	ds_read2_b32 v[35:36], v17 offset0:7 offset1:250
	;; [unrolled: 1-line block ×3, first 2 shown]
	ds_read_b32 v45, v0
	ds_read_b32 v46, v22
	;; [unrolled: 1-line block ×3, first 2 shown]
	s_waitcnt lgkmcnt(0)
	s_barrier
	buffer_gl0_inv
	ds_write2_b32 v11, v10, v31 offset1:3
	ds_write_b32 v11, v57 offset:24
	ds_write2_b32 v7, v29, v34 offset1:3
	ds_write_b32 v7, v58 offset:24
	;; [unrolled: 2-line block ×3, first 2 shown]
	s_waitcnt lgkmcnt(0)
	s_barrier
	buffer_gl0_inv
	global_load_dwordx4 v[9:12], v49, s[12:13] offset:48
	v_lshlrev_b32_sdwa v7, v5, v50 dst_sel:DWORD dst_unused:UNUSED_PAD src0_sel:DWORD src1_sel:WORD_0
	v_sub_nc_u16 v43, v26, v39
	v_mul_lo_u16 v40, v8, 19
	v_mov_b32_e32 v41, 0x6c
	v_mul_u32_u24_e32 v52, 0x6c, v53
	global_load_dwordx4 v[27:30], v7, s[12:13] offset:48
	v_lshlrev_b32_sdwa v7, v5, v43 dst_sel:DWORD dst_unused:UNUSED_PAD src0_sel:DWORD src1_sel:WORD_0
	v_lshrrev_b16 v48, 9, v40
	v_mul_u32_u24_sdwa v44, v55, v41 dst_sel:DWORD dst_unused:UNUSED_PAD src0_sel:WORD_0 src1_sel:DWORD
	v_lshlrev_b32_sdwa v55, v6, v42 dst_sel:DWORD dst_unused:UNUSED_PAD src0_sel:DWORD src1_sel:BYTE_0
	v_mul_u32_u24_e32 v51, 0x6c, v56
	global_load_dwordx4 v[31:34], v7, s[12:13] offset:48
	v_mov_b32_e32 v7, 0x2f69
	v_mul_lo_u16 v41, v48, 27
	v_add3_u32 v55, 0, v44, v55
	v_lshlrev_b32_sdwa v50, v6, v50 dst_sel:DWORD dst_unused:UNUSED_PAD src0_sel:DWORD src1_sel:WORD_0
	v_mul_lo_u16 v8, 0xcb, v8
	v_mul_u32_u24_sdwa v39, v25, v7 dst_sel:DWORD dst_unused:UNUSED_PAD src0_sel:WORD_0 src1_sel:DWORD
	v_mul_u32_u24_sdwa v7, v26, v7 dst_sel:DWORD dst_unused:UNUSED_PAD src0_sel:WORD_0 src1_sel:DWORD
	v_sub_nc_u16 v53, v24, v41
	ds_read2_b32 v[41:42], v17 offset0:7 offset1:250
	v_add3_u32 v50, 0, v51, v50
	v_lshrrev_b32_e32 v39, 16, v39
	v_lshrrev_b32_e32 v7, 16, v7
	v_lshlrev_b32_sdwa v56, v5, v53 dst_sel:DWORD dst_unused:UNUSED_PAD src0_sel:DWORD src1_sel:BYTE_0
	v_lshlrev_b32_sdwa v53, v6, v53 dst_sel:DWORD dst_unused:UNUSED_PAD src0_sel:DWORD src1_sel:BYTE_0
	v_sub_nc_u16 v40, v25, v39
	v_sub_nc_u16 v49, v26, v7
	v_lshrrev_b16 v40, 1, v40
	v_lshrrev_b16 v49, 1, v49
	v_add_nc_u16 v54, v40, v39
	ds_read2_b32 v[39:40], v15 offset0:9 offset1:252
	v_add_nc_u16 v7, v49, v7
	v_lshrrev_b16 v49, 4, v54
	v_lshlrev_b32_sdwa v54, v6, v43 dst_sel:DWORD dst_unused:UNUSED_PAD src0_sel:DWORD src1_sel:WORD_0
	ds_read2_b32 v[43:44], v16 offset0:5 offset1:248
	v_lshrrev_b16 v57, 4, v7
	v_mul_lo_u16 v7, v49, 27
	v_add3_u32 v51, 0, v52, v54
	v_mul_lo_u16 v52, v57, 27
	v_sub_nc_u16 v54, v25, v7
	ds_read_b32 v7, v0
	ds_read_b32 v58, v22
	;; [unrolled: 1-line block ×3, first 2 shown]
	s_waitcnt vmcnt(0) lgkmcnt(0)
	s_barrier
	buffer_gl0_inv
	v_mul_f32_e32 v60, v39, v10
	v_mul_f32_e32 v10, v13, v10
	;; [unrolled: 1-line block ×4, first 2 shown]
	v_fmac_f32_e32 v60, v13, v9
	v_fma_f32 v9, v39, v9, -v10
	v_fmac_f32_e32 v61, v36, v11
	v_fma_f32 v10, v42, v11, -v12
	v_mul_f32_e32 v11, v40, v28
	v_mul_f32_e32 v12, v14, v28
	;; [unrolled: 1-line block ×5, first 2 shown]
	v_fmac_f32_e32 v11, v14, v27
	v_mul_f32_e32 v14, v41, v32
	v_fma_f32 v12, v40, v27, -v12
	v_mul_f32_e32 v27, v44, v34
	v_mul_f32_e32 v32, v38, v34
	v_fmac_f32_e32 v13, v37, v29
	v_fma_f32 v28, v43, v29, -v28
	v_fmac_f32_e32 v14, v35, v31
	v_fma_f32 v29, v41, v31, -v30
	;; [unrolled: 2-line block ×3, first 2 shown]
	v_add_f32_e32 v32, v60, v61
	v_sub_f32_e32 v33, v9, v10
	v_add_f32_e32 v34, v7, v9
	v_add_f32_e32 v9, v9, v10
	v_add_f32_e32 v37, v11, v13
	v_sub_f32_e32 v38, v12, v28
	v_add_f32_e32 v39, v58, v12
	v_add_f32_e32 v12, v12, v28
	v_add_f32_e32 v41, v14, v27
	v_sub_f32_e32 v42, v29, v30
	v_add_f32_e32 v43, v59, v29
	v_add_f32_e32 v29, v29, v30
	v_add_f32_e32 v31, v45, v60
	v_sub_f32_e32 v35, v60, v61
	v_add_f32_e32 v36, v46, v11
	v_fmac_f32_e32 v45, -0.5, v32
	v_fmac_f32_e32 v7, -0.5, v9
	v_sub_f32_e32 v11, v11, v13
	v_add_f32_e32 v40, v47, v14
	v_fmac_f32_e32 v46, -0.5, v37
	v_fmac_f32_e32 v58, -0.5, v12
	v_sub_f32_e32 v14, v14, v27
	v_fmac_f32_e32 v47, -0.5, v41
	v_fmac_f32_e32 v59, -0.5, v29
	v_add_f32_e32 v31, v31, v61
	v_add_f32_e32 v10, v34, v10
	;; [unrolled: 1-line block ×3, first 2 shown]
	v_fmamk_f32 v13, v33, 0xbf5db3d7, v45
	v_fmamk_f32 v29, v35, 0x3f5db3d7, v7
	v_fmac_f32_e32 v45, 0x3f5db3d7, v33
	v_fmac_f32_e32 v7, 0xbf5db3d7, v35
	v_add_f32_e32 v28, v39, v28
	v_add_f32_e32 v12, v40, v27
	;; [unrolled: 1-line block ×3, first 2 shown]
	v_fmamk_f32 v30, v38, 0xbf5db3d7, v46
	v_fmamk_f32 v32, v11, 0x3f5db3d7, v58
	v_fmac_f32_e32 v46, 0x3f5db3d7, v38
	v_fmac_f32_e32 v58, 0xbf5db3d7, v11
	v_fmamk_f32 v11, v42, 0xbf5db3d7, v47
	v_fmamk_f32 v33, v14, 0x3f5db3d7, v59
	v_fmac_f32_e32 v47, 0x3f5db3d7, v42
	v_fmac_f32_e32 v59, 0xbf5db3d7, v14
	ds_write2_b32 v55, v31, v13 offset1:9
	ds_write_b32 v55, v45 offset:72
	ds_write2_b32 v50, v9, v30 offset1:9
	ds_write_b32 v50, v46 offset:72
	;; [unrolled: 2-line block ×3, first 2 shown]
	s_waitcnt lgkmcnt(0)
	s_barrier
	buffer_gl0_inv
	ds_read2_b32 v[13:14], v15 offset0:9 offset1:252
	ds_read2_b32 v[35:36], v17 offset0:7 offset1:250
	ds_read2_b32 v[37:38], v16 offset0:5 offset1:248
	ds_read_b32 v43, v0
	ds_read_b32 v44, v22
	;; [unrolled: 1-line block ×3, first 2 shown]
	s_waitcnt lgkmcnt(0)
	s_barrier
	buffer_gl0_inv
	ds_write2_b32 v55, v10, v29 offset1:9
	ds_write_b32 v55, v7 offset:72
	ds_write2_b32 v50, v28, v32 offset1:9
	ds_write_b32 v50, v58 offset:72
	;; [unrolled: 2-line block ×3, first 2 shown]
	s_waitcnt lgkmcnt(0)
	s_barrier
	buffer_gl0_inv
	global_load_dwordx4 v[9:12], v56, s[12:13] offset:192
	v_lshlrev_b32_sdwa v7, v5, v54 dst_sel:DWORD dst_unused:UNUSED_PAD src0_sel:DWORD src1_sel:WORD_0
	v_sub_nc_u16 v41, v26, v52
	v_lshrrev_b16 v46, 14, v8
	v_mov_b32_e32 v42, 0x144
	v_lshlrev_b32_sdwa v54, v6, v54 dst_sel:DWORD dst_unused:UNUSED_PAD src0_sel:DWORD src1_sel:WORD_0
	global_load_dwordx4 v[27:30], v7, s[12:13] offset:192
	v_lshlrev_b32_sdwa v7, v5, v41 dst_sel:DWORD dst_unused:UNUSED_PAD src0_sel:DWORD src1_sel:WORD_0
	v_lshlrev_b32_sdwa v58, v6, v41 dst_sel:DWORD dst_unused:UNUSED_PAD src0_sel:DWORD src1_sel:WORD_0
	v_mul_u32_u24_sdwa v48, v48, v42 dst_sel:DWORD dst_unused:UNUSED_PAD src0_sel:WORD_0 src1_sel:DWORD
	v_mul_u32_u24_sdwa v49, v49, v42 dst_sel:DWORD dst_unused:UNUSED_PAD src0_sel:WORD_0 src1_sel:DWORD
	;; [unrolled: 1-line block ×3, first 2 shown]
	global_load_dwordx4 v[31:34], v7, s[12:13] offset:192
	v_mov_b32_e32 v7, 0x6523
	ds_read2_b32 v[41:42], v16 offset0:5 offset1:248
	v_add3_u32 v48, 0, v48, v53
	v_add3_u32 v49, 0, v49, v54
	;; [unrolled: 1-line block ×3, first 2 shown]
	v_mul_u32_u24_sdwa v39, v25, v7 dst_sel:DWORD dst_unused:UNUSED_PAD src0_sel:WORD_0 src1_sel:DWORD
	v_mul_u32_u24_sdwa v7, v26, v7 dst_sel:DWORD dst_unused:UNUSED_PAD src0_sel:WORD_0 src1_sel:DWORD
	v_lshrrev_b32_e32 v47, 21, v39
	v_mul_lo_u16 v39, 0x51, v46
	v_lshrrev_b32_e32 v50, 21, v7
	ds_read2_b32 v[7:8], v15 offset0:9 offset1:252
	v_mul_lo_u16 v51, 0x51, v47
	v_sub_nc_u16 v55, v24, v39
	ds_read2_b32 v[39:40], v17 offset0:7 offset1:250
	ds_read_b32 v54, v0
	ds_read_b32 v57, v22
	;; [unrolled: 1-line block ×3, first 2 shown]
	v_mul_lo_u16 v52, 0x51, v50
	v_sub_nc_u16 v51, v25, v51
	v_lshlrev_b32_sdwa v56, v5, v55 dst_sel:DWORD dst_unused:UNUSED_PAD src0_sel:DWORD src1_sel:BYTE_0
	s_waitcnt vmcnt(0) lgkmcnt(0)
	s_barrier
	v_sub_nc_u16 v52, v26, v52
	v_lshlrev_b32_sdwa v59, v5, v51 dst_sel:DWORD dst_unused:UNUSED_PAD src0_sel:DWORD src1_sel:WORD_0
	buffer_gl0_inv
	v_lshlrev_b32_sdwa v5, v5, v52 dst_sel:DWORD dst_unused:UNUSED_PAD src0_sel:DWORD src1_sel:WORD_0
	v_mul_f32_e32 v60, v7, v10
	v_mul_f32_e32 v10, v13, v10
	;; [unrolled: 1-line block ×4, first 2 shown]
	v_fmac_f32_e32 v60, v13, v9
	v_fma_f32 v7, v7, v9, -v10
	v_fmac_f32_e32 v61, v36, v11
	v_fma_f32 v9, v40, v11, -v12
	v_mul_f32_e32 v10, v8, v28
	v_mul_f32_e32 v11, v14, v28
	;; [unrolled: 1-line block ×5, first 2 shown]
	v_fmac_f32_e32 v10, v14, v27
	v_mul_f32_e32 v14, v39, v32
	v_fma_f32 v8, v8, v27, -v11
	v_mul_f32_e32 v11, v42, v34
	v_mul_f32_e32 v27, v38, v34
	v_fmac_f32_e32 v12, v37, v29
	v_fma_f32 v13, v41, v29, -v13
	v_fmac_f32_e32 v14, v35, v31
	v_fma_f32 v28, v39, v31, -v28
	;; [unrolled: 2-line block ×3, first 2 shown]
	v_add_f32_e32 v30, v60, v61
	v_sub_f32_e32 v31, v7, v9
	v_add_f32_e32 v32, v54, v7
	v_add_f32_e32 v7, v7, v9
	v_add_f32_e32 v35, v10, v12
	v_sub_f32_e32 v36, v8, v13
	v_add_f32_e32 v37, v57, v8
	v_add_f32_e32 v8, v8, v13
	;; [unrolled: 4-line block ×4, first 2 shown]
	v_fmac_f32_e32 v43, -0.5, v30
	v_fmac_f32_e32 v54, -0.5, v7
	v_sub_f32_e32 v10, v10, v12
	v_fmac_f32_e32 v44, -0.5, v35
	v_fmac_f32_e32 v57, -0.5, v8
	v_sub_f32_e32 v14, v14, v11
	v_fmac_f32_e32 v45, -0.5, v39
	v_fmac_f32_e32 v58, -0.5, v28
	v_add_f32_e32 v29, v29, v61
	v_add_f32_e32 v9, v32, v9
	;; [unrolled: 1-line block ×6, first 2 shown]
	v_fmamk_f32 v13, v31, 0xbf5db3d7, v43
	v_fmamk_f32 v27, v33, 0x3f5db3d7, v54
	v_fmac_f32_e32 v43, 0x3f5db3d7, v31
	v_fmac_f32_e32 v54, 0xbf5db3d7, v33
	v_fmamk_f32 v28, v36, 0xbf5db3d7, v44
	v_fmamk_f32 v30, v10, 0x3f5db3d7, v57
	v_fmac_f32_e32 v44, 0x3f5db3d7, v36
	v_fmac_f32_e32 v57, 0xbf5db3d7, v10
	v_fmamk_f32 v10, v40, 0xbf5db3d7, v45
	v_fmac_f32_e32 v45, 0x3f5db3d7, v40
	v_fmamk_f32 v31, v14, 0x3f5db3d7, v58
	v_fmac_f32_e32 v58, 0xbf5db3d7, v14
	ds_write2_b32 v48, v29, v13 offset1:27
	ds_write_b32 v48, v43 offset:216
	ds_write2_b32 v49, v7, v28 offset1:27
	ds_write_b32 v49, v44 offset:216
	;; [unrolled: 2-line block ×3, first 2 shown]
	s_waitcnt lgkmcnt(0)
	s_barrier
	buffer_gl0_inv
	ds_read2_b32 v[35:36], v15 offset0:9 offset1:252
	ds_read2_b32 v[37:38], v17 offset0:7 offset1:250
	;; [unrolled: 1-line block ×3, first 2 shown]
	ds_read_b32 v45, v0
	ds_read_b32 v60, v22
	ds_read_b32 v61, v23
	s_waitcnt lgkmcnt(0)
	s_barrier
	buffer_gl0_inv
	ds_write2_b32 v48, v9, v27 offset1:27
	ds_write_b32 v48, v54 offset:216
	ds_write2_b32 v49, v12, v30 offset1:27
	ds_write_b32 v49, v57 offset:216
	;; [unrolled: 2-line block ×3, first 2 shown]
	s_waitcnt lgkmcnt(0)
	s_barrier
	buffer_gl0_inv
	s_clause 0x2
	global_load_dwordx4 v[7:10], v56, s[12:13] offset:624
	global_load_dwordx4 v[27:30], v59, s[12:13] offset:624
	;; [unrolled: 1-line block ×3, first 2 shown]
	v_mov_b32_e32 v5, 0xdb3
	v_lshlrev_b32_e32 v13, 1, v24
	v_mov_b32_e32 v14, 0
	v_mov_b32_e32 v41, 0x3cc
	ds_read2_b32 v[43:44], v17 offset0:7 offset1:250
	v_mul_u32_u24_sdwa v5, v26, v5 dst_sel:DWORD dst_unused:UNUSED_PAD src0_sel:WORD_0 src1_sel:DWORD
	v_lshlrev_b32_sdwa v48, v6, v55 dst_sel:DWORD dst_unused:UNUSED_PAD src0_sel:DWORD src1_sel:BYTE_0
	v_lshlrev_b32_sdwa v49, v6, v51 dst_sel:DWORD dst_unused:UNUSED_PAD src0_sel:DWORD src1_sel:WORD_0
	v_lshrrev_b32_e32 v5, 16, v5
	v_sub_nc_u16 v11, v26, v5
	v_lshrrev_b16 v11, 1, v11
	v_add_nc_u16 v5, v11, v5
	v_lshlrev_b64 v[11:12], 3, v[13:14]
	v_mul_u32_u24_sdwa v13, v46, v41 dst_sel:DWORD dst_unused:UNUSED_PAD src0_sel:WORD_0 src1_sel:DWORD
	ds_read2_b32 v[41:42], v15 offset0:9 offset1:252
	v_mul_u32_u24_e32 v46, 0x3cc, v47
	v_lshrrev_b16 v5, 7, v5
	v_mul_u32_u24_e32 v47, 0x3cc, v50
	v_lshlrev_b32_sdwa v50, v6, v52 dst_sel:DWORD dst_unused:UNUSED_PAD src0_sel:DWORD src1_sel:WORD_0
	v_add3_u32 v13, 0, v13, v48
	v_add3_u32 v46, 0, v46, v49
	v_mul_lo_u16 v5, 0xf3, v5
	v_add_co_u32 v11, s0, s12, v11
	v_add3_u32 v47, 0, v47, v50
	v_add_co_ci_u32_e64 v12, s0, s13, v12, s0
	v_sub_nc_u16 v51, v26, v5
	ds_read2_b32 v[5:6], v16 offset0:5 offset1:248
	v_and_b32_e32 v48, 0xffff, v51
	ds_read_b32 v49, v0
	ds_read_b32 v50, v22
	;; [unrolled: 1-line block ×3, first 2 shown]
	s_waitcnt vmcnt(0) lgkmcnt(0)
	s_barrier
	buffer_gl0_inv
	v_mul_f32_e32 v54, v42, v28
	v_mul_f32_e32 v52, v41, v8
	;; [unrolled: 1-line block ×9, first 2 shown]
	v_fmac_f32_e32 v52, v35, v7
	v_fma_f32 v7, v41, v7, -v8
	v_fmac_f32_e32 v53, v38, v9
	v_fma_f32 v8, v44, v9, -v10
	v_mul_f32_e32 v9, v37, v32
	v_mul_f32_e32 v10, v6, v34
	;; [unrolled: 1-line block ×3, first 2 shown]
	v_fmac_f32_e32 v54, v36, v27
	v_fma_f32 v27, v42, v27, -v28
	v_fmac_f32_e32 v55, v39, v29
	v_fma_f32 v5, v5, v29, -v30
	;; [unrolled: 2-line block ×4, first 2 shown]
	v_add_f32_e32 v29, v52, v53
	v_sub_f32_e32 v30, v7, v8
	v_add_f32_e32 v31, v49, v7
	v_add_f32_e32 v7, v7, v8
	v_add_f32_e32 v34, v54, v55
	v_sub_f32_e32 v35, v27, v5
	v_add_f32_e32 v36, v50, v27
	v_add_f32_e32 v27, v27, v5
	;; [unrolled: 4-line block ×3, first 2 shown]
	v_add_f32_e32 v28, v45, v52
	v_sub_f32_e32 v32, v52, v53
	v_fmac_f32_e32 v45, -0.5, v29
	v_fmac_f32_e32 v49, -0.5, v7
	v_add_f32_e32 v33, v60, v54
	v_sub_f32_e32 v37, v54, v55
	v_fmac_f32_e32 v60, -0.5, v34
	v_fmac_f32_e32 v50, -0.5, v27
	v_add_f32_e32 v38, v61, v56
	v_sub_f32_e32 v42, v56, v10
	v_fmac_f32_e32 v61, -0.5, v39
	v_fmac_f32_e32 v51, -0.5, v9
	v_add_f32_e32 v28, v28, v53
	v_add_f32_e32 v8, v31, v8
	v_fmamk_f32 v9, v30, 0xbf5db3d7, v45
	v_fmamk_f32 v27, v32, 0x3f5db3d7, v49
	v_fmac_f32_e32 v45, 0x3f5db3d7, v30
	v_fmac_f32_e32 v49, 0xbf5db3d7, v32
	v_add_f32_e32 v7, v33, v55
	v_add_f32_e32 v5, v36, v5
	v_fmamk_f32 v29, v35, 0xbf5db3d7, v60
	v_fmamk_f32 v30, v37, 0x3f5db3d7, v50
	v_fmac_f32_e32 v60, 0x3f5db3d7, v35
	v_fmac_f32_e32 v50, 0xbf5db3d7, v37
	;; [unrolled: 6-line block ×3, first 2 shown]
	ds_write2_b32 v13, v28, v9 offset1:81
	ds_write_b32 v13, v45 offset:648
	ds_write2_b32 v46, v7, v29 offset1:81
	ds_write_b32 v46, v60 offset:648
	;; [unrolled: 2-line block ×3, first 2 shown]
	s_waitcnt lgkmcnt(0)
	s_barrier
	buffer_gl0_inv
	ds_read2_b32 v[9:10], v15 offset0:9 offset1:252
	ds_read2_b32 v[31:32], v17 offset0:7 offset1:250
	;; [unrolled: 1-line block ×3, first 2 shown]
	ds_read_b32 v41, v0
	ds_read_b32 v42, v22
	;; [unrolled: 1-line block ×3, first 2 shown]
	s_waitcnt lgkmcnt(0)
	s_barrier
	buffer_gl0_inv
	ds_write2_b32 v13, v8, v27 offset1:81
	ds_write_b32 v13, v49 offset:648
	ds_write2_b32 v46, v5, v30 offset1:81
	ds_write_b32 v46, v50 offset:648
	;; [unrolled: 2-line block ×3, first 2 shown]
	v_lshlrev_b32_e32 v13, 4, v48
	s_waitcnt lgkmcnt(0)
	s_barrier
	buffer_gl0_inv
	s_clause 0x1
	global_load_dwordx4 v[5:8], v[11:12], off offset:1920
	global_load_dwordx4 v[27:30], v13, s[12:13] offset:1920
	ds_read2_b32 v[35:36], v15 offset0:9 offset1:252
	ds_read2_b32 v[37:38], v17 offset0:7 offset1:250
	;; [unrolled: 1-line block ×3, first 2 shown]
	v_lshl_add_u32 v13, v48, 2, 0
	ds_read_b32 v47, v0
	ds_read_b32 v48, v22
	;; [unrolled: 1-line block ×3, first 2 shown]
	v_add_nc_u32_e32 v44, 0x780, v0
	v_add_nc_u32_e32 v45, 0xf00, v0
	s_waitcnt vmcnt(0) lgkmcnt(0)
	v_add_nc_u32_e32 v46, 0x16c0, v13
	s_barrier
	buffer_gl0_inv
	v_mul_f32_e32 v50, v35, v6
	v_mul_f32_e32 v52, v38, v8
	;; [unrolled: 1-line block ×9, first 2 shown]
	v_fmac_f32_e32 v50, v9, v5
	v_fmac_f32_e32 v52, v32, v7
	v_mul_f32_e32 v6, v10, v6
	v_fmac_f32_e32 v54, v10, v5
	v_fmac_f32_e32 v55, v33, v7
	v_mul_f32_e32 v28, v31, v28
	v_mul_f32_e32 v30, v34, v30
	v_fmac_f32_e32 v56, v31, v27
	v_fmac_f32_e32 v57, v34, v29
	v_fma_f32 v9, v35, v5, -v51
	v_fma_f32 v32, v38, v7, -v53
	;; [unrolled: 1-line block ×3, first 2 shown]
	v_add_f32_e32 v8, v50, v52
	v_fma_f32 v5, v36, v5, -v6
	v_add_f32_e32 v31, v54, v55
	v_fma_f32 v6, v37, v27, -v28
	v_fma_f32 v28, v40, v29, -v30
	v_add_f32_e32 v38, v56, v57
	v_add_f32_e32 v7, v41, v50
	v_sub_f32_e32 v10, v9, v32
	v_fmac_f32_e32 v41, -0.5, v8
	v_add_f32_e32 v30, v42, v54
	v_add_f32_e32 v27, v47, v9
	v_add_f32_e32 v9, v9, v32
	v_sub_f32_e32 v34, v5, v33
	v_fmac_f32_e32 v42, -0.5, v31
	v_add_f32_e32 v35, v48, v5
	v_add_f32_e32 v5, v5, v33
	v_add_f32_e32 v37, v43, v56
	v_sub_f32_e32 v39, v6, v28
	v_fmac_f32_e32 v43, -0.5, v38
	v_sub_f32_e32 v29, v50, v52
	v_add_f32_e32 v40, v49, v6
	v_add_f32_e32 v50, v6, v28
	;; [unrolled: 1-line block ×3, first 2 shown]
	v_fmamk_f32 v8, v10, 0xbf5db3d7, v41
	v_add_f32_e32 v7, v30, v55
	v_fmac_f32_e32 v41, 0x3f5db3d7, v10
	v_fmac_f32_e32 v47, -0.5, v9
	v_fmamk_f32 v9, v34, 0xbf5db3d7, v42
	v_fmac_f32_e32 v42, 0x3f5db3d7, v34
	v_fmac_f32_e32 v48, -0.5, v5
	v_add_f32_e32 v5, v37, v57
	v_fmamk_f32 v10, v39, 0xbf5db3d7, v43
	v_fmac_f32_e32 v43, 0x3f5db3d7, v39
	v_add_f32_e32 v32, v27, v32
	ds_write2_b32 v0, v6, v8 offset1:243
	ds_write2_b32 v44, v41, v7 offset0:6 offset1:249
	ds_write2_b32 v45, v9, v42 offset0:12 offset1:255
	;; [unrolled: 1-line block ×3, first 2 shown]
	ds_write_b32 v13, v43 offset:7776
	s_waitcnt lgkmcnt(0)
	s_barrier
	buffer_gl0_inv
	ds_read2_b32 v[5:6], v15 offset0:9 offset1:252
	ds_read2_b32 v[7:8], v17 offset0:7 offset1:250
	;; [unrolled: 1-line block ×3, first 2 shown]
	ds_read_b32 v27, v0
	ds_read_b32 v22, v22
	;; [unrolled: 1-line block ×3, first 2 shown]
	v_sub_f32_e32 v36, v54, v55
	v_fmamk_f32 v30, v29, 0x3f5db3d7, v47
	v_fmac_f32_e32 v47, 0xbf5db3d7, v29
	v_fmac_f32_e32 v49, -0.5, v50
	v_sub_f32_e32 v29, v56, v57
	v_add_f32_e32 v31, v35, v33
	v_fmamk_f32 v33, v36, 0x3f5db3d7, v48
	v_fmac_f32_e32 v48, 0xbf5db3d7, v36
	v_add_f32_e32 v28, v40, v28
	v_fmamk_f32 v34, v29, 0x3f5db3d7, v49
	v_fmac_f32_e32 v49, 0xbf5db3d7, v29
	s_waitcnt lgkmcnt(0)
	s_barrier
	buffer_gl0_inv
	ds_write2_b32 v0, v32, v30 offset1:243
	ds_write2_b32 v44, v47, v31 offset0:6 offset1:249
	ds_write2_b32 v45, v33, v48 offset0:12 offset1:255
	;; [unrolled: 1-line block ×3, first 2 shown]
	ds_write_b32 v13, v49 offset:7776
	s_waitcnt lgkmcnt(0)
	s_barrier
	buffer_gl0_inv
	s_and_saveexec_b32 s0, vcc_lo
	s_cbranch_execz .LBB0_15
; %bb.14:
	v_lshlrev_b32_e32 v13, 1, v26
	v_add_nc_u32_e32 v37, 0xf3, v24
	v_mul_hi_u32 v36, 0x59e60383, v24
	v_add_nc_u32_e32 v38, 0x1e6, v24
	v_sub_nc_u32_e32 v21, 0, v21
	v_lshlrev_b64 v[28:29], 3, v[13:14]
	v_lshlrev_b32_e32 v13, 1, v25
	v_mul_hi_u32 v39, 0x59e60383, v37
	v_mul_hi_u32 v40, 0x59e60383, v38
	v_sub_nc_u32_e32 v20, 0, v20
	v_lshrrev_b32_e32 v36, 8, v36
	v_add_co_u32 v26, vcc_lo, s12, v28
	v_add_co_ci_u32_e32 v28, vcc_lo, s13, v29, vcc_lo
	v_lshlrev_b64 v[13:14], 3, v[13:14]
	v_add_co_u32 v25, vcc_lo, 0x1000, v26
	v_add_co_ci_u32_e32 v26, vcc_lo, 0, v28, vcc_lo
	v_add_nc_u32_e32 v56, v19, v21
	v_add_co_u32 v13, vcc_lo, s12, v13
	v_add_co_ci_u32_e32 v14, vcc_lo, s13, v14, vcc_lo
	global_load_dwordx4 v[28:31], v[25:26], off offset:1712
	v_add_co_u32 v13, vcc_lo, 0x1000, v13
	v_add_co_ci_u32_e32 v14, vcc_lo, 0, v14, vcc_lo
	v_add_co_u32 v25, vcc_lo, 0x1000, v11
	v_add_co_ci_u32_e32 v26, vcc_lo, 0, v12, vcc_lo
	s_clause 0x1
	global_load_dwordx4 v[11:14], v[13:14], off offset:1712
	global_load_dwordx4 v[32:35], v[25:26], off offset:1712
	v_mul_lo_u32 v25, s5, v3
	v_mul_lo_u32 v26, s4, v4
	v_mad_u64_u32 v[3:4], null, s4, v3, 0
	v_lshrrev_b32_e32 v21, 8, v39
	v_mul_u32_u24_e32 v19, 0x2d9, v36
	v_add_nc_u32_e32 v57, v18, v20
	v_lshlrev_b64 v[1:2], 3, v[1:2]
	v_mul_u32_u24_e32 v18, 0x2d9, v21
	v_add3_u32 v4, v4, v26, v25
	v_lshrrev_b32_e32 v25, 8, v40
	v_sub_nc_u32_e32 v26, v24, v19
	v_sub_nc_u32_e32 v18, v37, v18
	v_lshlrev_b64 v[3:4], 3, v[3:4]
	v_mul_u32_u24_e32 v19, 0x2d9, v25
	v_add_nc_u32_e32 v45, 0x5b2, v26
	v_add_nc_u32_e32 v43, 0x2d9, v26
	v_mad_u32_u24 v47, 0x88b, v21, v18
	v_add_co_u32 v20, vcc_lo, s10, v3
	v_sub_nc_u32_e32 v36, v38, v19
	v_add_co_ci_u32_e32 v24, vcc_lo, s11, v4, vcc_lo
	v_mad_u64_u32 v[3:4], null, s2, v26, 0
	v_mad_u64_u32 v[18:19], null, s2, v45, 0
	v_add_co_u32 v58, vcc_lo, v20, v1
	v_mad_u32_u24 v49, 0x88b, v25, v36
	v_add_nc_u32_e32 v50, 0x2d9, v47
	v_add_nc_u32_e32 v51, 0x5b2, v47
	v_add_co_ci_u32_e32 v59, vcc_lo, v24, v2, vcc_lo
	v_mad_u64_u32 v[1:2], null, s2, v43, 0
	v_mad_u64_u32 v[20:21], null, s2, v47, 0
	v_mad_u64_u32 v[36:37], null, s3, v26, v[4:5]
	v_mad_u64_u32 v[24:25], null, s2, v49, 0
	v_add_nc_u32_e32 v52, 0x2d9, v49
	v_mov_b32_e32 v4, v19
	v_mad_u64_u32 v[37:38], null, s2, v50, 0
	v_mad_u64_u32 v[39:40], null, s2, v51, 0
	;; [unrolled: 1-line block ×3, first 2 shown]
	v_add_nc_u32_e32 v54, 0x5b2, v49
	v_mad_u64_u32 v[41:42], null, s2, v52, 0
	v_mad_u64_u32 v[44:45], null, s3, v45, v[4:5]
	v_mov_b32_e32 v2, v21
	v_mov_b32_e32 v21, v25
	;; [unrolled: 1-line block ×4, first 2 shown]
	v_mad_u64_u32 v[45:46], null, s2, v54, 0
	v_mad_u64_u32 v[47:48], null, s3, v47, v[2:3]
	v_mov_b32_e32 v2, v43
	v_mov_b32_e32 v19, v44
	v_mad_u64_u32 v[43:44], null, s3, v49, v[21:22]
	v_mad_u64_u32 v[48:49], null, s3, v50, v[25:26]
	v_mov_b32_e32 v25, v42
	v_mad_u64_u32 v[49:50], null, s3, v51, v[26:27]
	ds_read2_b32 v[50:51], v17 offset0:7 offset1:250
	v_mov_b32_e32 v21, v47
	v_mov_b32_e32 v17, v46
	v_mad_u64_u32 v[46:47], null, s3, v52, v[25:26]
	ds_read2_b32 v[52:53], v16 offset0:5 offset1:248
	v_mov_b32_e32 v4, v36
	v_mad_u64_u32 v[16:17], null, s3, v54, v[17:18]
	ds_read2_b32 v[54:55], v15 offset0:9 offset1:252
	ds_read_b32 v26, v57
	ds_read_b32 v44, v56
	;; [unrolled: 1-line block ×3, first 2 shown]
	v_lshlrev_b64 v[3:4], 3, v[3:4]
	v_lshlrev_b64 v[0:1], 3, v[1:2]
	;; [unrolled: 1-line block ×4, first 2 shown]
	v_mov_b32_e32 v25, v43
	v_mov_b32_e32 v38, v48
	v_add_co_u32 v2, vcc_lo, v58, v3
	v_add_co_ci_u32_e32 v3, vcc_lo, v59, v4, vcc_lo
	v_mov_b32_e32 v40, v49
	v_mov_b32_e32 v42, v46
	;; [unrolled: 1-line block ×3, first 2 shown]
	v_add_co_u32 v0, vcc_lo, v58, v0
	v_add_co_ci_u32_e32 v1, vcc_lo, v59, v1, vcc_lo
	v_add_co_u32 v15, vcc_lo, v58, v17
	v_lshlrev_b64 v[24:25], 3, v[24:25]
	v_add_co_ci_u32_e32 v16, vcc_lo, v59, v18, vcc_lo
	v_lshlrev_b64 v[17:18], 3, v[37:38]
	v_lshlrev_b64 v[36:37], 3, v[39:40]
	;; [unrolled: 1-line block ×4, first 2 shown]
	v_add_co_u32 v19, vcc_lo, v58, v19
	v_add_co_ci_u32_e32 v20, vcc_lo, v59, v20, vcc_lo
	v_add_co_u32 v24, vcc_lo, v58, v24
	v_add_co_ci_u32_e32 v25, vcc_lo, v59, v25, vcc_lo
	;; [unrolled: 2-line block ×6, first 2 shown]
	s_waitcnt vmcnt(2)
	v_mul_f32_e32 v4, v7, v29
	v_mul_f32_e32 v21, v10, v31
	s_waitcnt lgkmcnt(5)
	v_mul_f32_e32 v29, v50, v29
	s_waitcnt lgkmcnt(4)
	v_mul_f32_e32 v31, v53, v31
	v_fma_f32 v4, v50, v28, -v4
	v_fma_f32 v21, v53, v30, -v21
	v_fmac_f32_e32 v29, v7, v28
	v_fmac_f32_e32 v31, v10, v30
	s_waitcnt vmcnt(1)
	v_mul_f32_e32 v7, v6, v12
	v_mul_f32_e32 v10, v9, v14
	s_waitcnt lgkmcnt(3)
	v_mul_f32_e32 v12, v55, v12
	v_mul_f32_e32 v14, v52, v14
	s_waitcnt vmcnt(0)
	v_mul_f32_e32 v28, v5, v33
	v_mul_f32_e32 v30, v8, v35
	;; [unrolled: 1-line block ×4, first 2 shown]
	v_sub_f32_e32 v43, v29, v31
	s_waitcnt lgkmcnt(1)
	v_add_f32_e32 v45, v44, v4
	v_add_f32_e32 v46, v29, v31
	;; [unrolled: 1-line block ×3, first 2 shown]
	v_fma_f32 v49, v55, v11, -v7
	v_fmac_f32_e32 v12, v6, v11
	v_fmac_f32_e32 v14, v9, v13
	v_fma_f32 v9, v54, v32, -v28
	v_fma_f32 v28, v51, v34, -v30
	v_fmac_f32_e32 v33, v5, v32
	v_fmac_f32_e32 v35, v8, v34
	v_fma_f32 v10, v52, v13, -v10
	v_add_f32_e32 v42, v4, v21
	v_sub_f32_e32 v48, v4, v21
	v_add_f32_e32 v7, v45, v21
	v_add_f32_e32 v6, v29, v31
	;; [unrolled: 1-line block ×7, first 2 shown]
	v_sub_f32_e32 v31, v33, v35
	s_waitcnt lgkmcnt(0)
	v_add_f32_e32 v30, v47, v9
	v_add_f32_e32 v33, v27, v33
	v_fma_f32 v5, -0.5, v42, v44
	v_fma_f32 v4, -0.5, v46, v23
	v_sub_f32_e32 v23, v12, v14
	v_sub_f32_e32 v34, v49, v10
	v_add_f32_e32 v12, v22, v12
	v_sub_f32_e32 v42, v9, v28
	v_add_f32_e32 v13, v13, v10
	v_fma_f32 v10, -0.5, v21, v22
	v_fma_f32 v22, -0.5, v29, v47
	;; [unrolled: 1-line block ×4, first 2 shown]
	v_add_f32_e32 v28, v30, v28
	v_add_f32_e32 v27, v33, v35
	v_fmamk_f32 v32, v31, 0xbf5db3d7, v22
	v_fmac_f32_e32 v22, 0x3f5db3d7, v31
	v_fmamk_f32 v31, v42, 0x3f5db3d7, v21
	v_fmac_f32_e32 v21, 0xbf5db3d7, v42
	v_add_f32_e32 v12, v12, v14
	v_fmamk_f32 v30, v23, 0xbf5db3d7, v11
	v_fmac_f32_e32 v11, 0x3f5db3d7, v23
	v_fmamk_f32 v29, v34, 0x3f5db3d7, v10
	v_fmac_f32_e32 v10, 0xbf5db3d7, v34
	;; [unrolled: 2-line block ×4, first 2 shown]
	global_store_dwordx2 v[2:3], v[27:28], off
	global_store_dwordx2 v[0:1], v[21:22], off
	;; [unrolled: 1-line block ×9, first 2 shown]
.LBB0_15:
	s_endpgm
	.section	.rodata,"a",@progbits
	.p2align	6, 0x0
	.amdhsa_kernel fft_rtc_back_len2187_factors_3_3_3_3_3_3_3_wgs_243_tpt_243_halfLds_sp_op_CI_CI_sbrr_dirReg
		.amdhsa_group_segment_fixed_size 0
		.amdhsa_private_segment_fixed_size 0
		.amdhsa_kernarg_size 104
		.amdhsa_user_sgpr_count 6
		.amdhsa_user_sgpr_private_segment_buffer 1
		.amdhsa_user_sgpr_dispatch_ptr 0
		.amdhsa_user_sgpr_queue_ptr 0
		.amdhsa_user_sgpr_kernarg_segment_ptr 1
		.amdhsa_user_sgpr_dispatch_id 0
		.amdhsa_user_sgpr_flat_scratch_init 0
		.amdhsa_user_sgpr_private_segment_size 0
		.amdhsa_wavefront_size32 1
		.amdhsa_uses_dynamic_stack 0
		.amdhsa_system_sgpr_private_segment_wavefront_offset 0
		.amdhsa_system_sgpr_workgroup_id_x 1
		.amdhsa_system_sgpr_workgroup_id_y 0
		.amdhsa_system_sgpr_workgroup_id_z 0
		.amdhsa_system_sgpr_workgroup_info 0
		.amdhsa_system_vgpr_workitem_id 0
		.amdhsa_next_free_vgpr 62
		.amdhsa_next_free_sgpr 31
		.amdhsa_reserve_vcc 1
		.amdhsa_reserve_flat_scratch 0
		.amdhsa_float_round_mode_32 0
		.amdhsa_float_round_mode_16_64 0
		.amdhsa_float_denorm_mode_32 3
		.amdhsa_float_denorm_mode_16_64 3
		.amdhsa_dx10_clamp 1
		.amdhsa_ieee_mode 1
		.amdhsa_fp16_overflow 0
		.amdhsa_workgroup_processor_mode 1
		.amdhsa_memory_ordered 1
		.amdhsa_forward_progress 0
		.amdhsa_shared_vgpr_count 0
		.amdhsa_exception_fp_ieee_invalid_op 0
		.amdhsa_exception_fp_denorm_src 0
		.amdhsa_exception_fp_ieee_div_zero 0
		.amdhsa_exception_fp_ieee_overflow 0
		.amdhsa_exception_fp_ieee_underflow 0
		.amdhsa_exception_fp_ieee_inexact 0
		.amdhsa_exception_int_div_zero 0
	.end_amdhsa_kernel
	.text
.Lfunc_end0:
	.size	fft_rtc_back_len2187_factors_3_3_3_3_3_3_3_wgs_243_tpt_243_halfLds_sp_op_CI_CI_sbrr_dirReg, .Lfunc_end0-fft_rtc_back_len2187_factors_3_3_3_3_3_3_3_wgs_243_tpt_243_halfLds_sp_op_CI_CI_sbrr_dirReg
                                        ; -- End function
	.section	.AMDGPU.csdata,"",@progbits
; Kernel info:
; codeLenInByte = 7808
; NumSgprs: 33
; NumVgprs: 62
; ScratchSize: 0
; MemoryBound: 0
; FloatMode: 240
; IeeeMode: 1
; LDSByteSize: 0 bytes/workgroup (compile time only)
; SGPRBlocks: 4
; VGPRBlocks: 7
; NumSGPRsForWavesPerEU: 33
; NumVGPRsForWavesPerEU: 62
; Occupancy: 16
; WaveLimiterHint : 1
; COMPUTE_PGM_RSRC2:SCRATCH_EN: 0
; COMPUTE_PGM_RSRC2:USER_SGPR: 6
; COMPUTE_PGM_RSRC2:TRAP_HANDLER: 0
; COMPUTE_PGM_RSRC2:TGID_X_EN: 1
; COMPUTE_PGM_RSRC2:TGID_Y_EN: 0
; COMPUTE_PGM_RSRC2:TGID_Z_EN: 0
; COMPUTE_PGM_RSRC2:TIDIG_COMP_CNT: 0
	.text
	.p2alignl 6, 3214868480
	.fill 48, 4, 3214868480
	.type	__hip_cuid_afd3942de69d43aa,@object ; @__hip_cuid_afd3942de69d43aa
	.section	.bss,"aw",@nobits
	.globl	__hip_cuid_afd3942de69d43aa
__hip_cuid_afd3942de69d43aa:
	.byte	0                               ; 0x0
	.size	__hip_cuid_afd3942de69d43aa, 1

	.ident	"AMD clang version 19.0.0git (https://github.com/RadeonOpenCompute/llvm-project roc-6.4.0 25133 c7fe45cf4b819c5991fe208aaa96edf142730f1d)"
	.section	".note.GNU-stack","",@progbits
	.addrsig
	.addrsig_sym __hip_cuid_afd3942de69d43aa
	.amdgpu_metadata
---
amdhsa.kernels:
  - .args:
      - .actual_access:  read_only
        .address_space:  global
        .offset:         0
        .size:           8
        .value_kind:     global_buffer
      - .offset:         8
        .size:           8
        .value_kind:     by_value
      - .actual_access:  read_only
        .address_space:  global
        .offset:         16
        .size:           8
        .value_kind:     global_buffer
      - .actual_access:  read_only
        .address_space:  global
        .offset:         24
        .size:           8
        .value_kind:     global_buffer
      - .actual_access:  read_only
        .address_space:  global
        .offset:         32
        .size:           8
        .value_kind:     global_buffer
      - .offset:         40
        .size:           8
        .value_kind:     by_value
      - .actual_access:  read_only
        .address_space:  global
        .offset:         48
        .size:           8
        .value_kind:     global_buffer
      - .actual_access:  read_only
        .address_space:  global
        .offset:         56
        .size:           8
        .value_kind:     global_buffer
      - .offset:         64
        .size:           4
        .value_kind:     by_value
      - .actual_access:  read_only
        .address_space:  global
        .offset:         72
        .size:           8
        .value_kind:     global_buffer
      - .actual_access:  read_only
        .address_space:  global
        .offset:         80
        .size:           8
        .value_kind:     global_buffer
      - .actual_access:  read_only
        .address_space:  global
        .offset:         88
        .size:           8
        .value_kind:     global_buffer
      - .actual_access:  write_only
        .address_space:  global
        .offset:         96
        .size:           8
        .value_kind:     global_buffer
    .group_segment_fixed_size: 0
    .kernarg_segment_align: 8
    .kernarg_segment_size: 104
    .language:       OpenCL C
    .language_version:
      - 2
      - 0
    .max_flat_workgroup_size: 243
    .name:           fft_rtc_back_len2187_factors_3_3_3_3_3_3_3_wgs_243_tpt_243_halfLds_sp_op_CI_CI_sbrr_dirReg
    .private_segment_fixed_size: 0
    .sgpr_count:     33
    .sgpr_spill_count: 0
    .symbol:         fft_rtc_back_len2187_factors_3_3_3_3_3_3_3_wgs_243_tpt_243_halfLds_sp_op_CI_CI_sbrr_dirReg.kd
    .uniform_work_group_size: 1
    .uses_dynamic_stack: false
    .vgpr_count:     62
    .vgpr_spill_count: 0
    .wavefront_size: 32
    .workgroup_processor_mode: 1
amdhsa.target:   amdgcn-amd-amdhsa--gfx1030
amdhsa.version:
  - 1
  - 2
...

	.end_amdgpu_metadata
